;; amdgpu-corpus repo=ROCm/rocFFT kind=compiled arch=gfx1201 opt=O3
	.text
	.amdgcn_target "amdgcn-amd-amdhsa--gfx1201"
	.amdhsa_code_object_version 6
	.protected	fft_rtc_fwd_len1584_factors_4_2_2_11_3_3_wgs_176_tpt_176_halfLds_dp_op_CI_CI_unitstride_sbrr_C2R_dirReg ; -- Begin function fft_rtc_fwd_len1584_factors_4_2_2_11_3_3_wgs_176_tpt_176_halfLds_dp_op_CI_CI_unitstride_sbrr_C2R_dirReg
	.globl	fft_rtc_fwd_len1584_factors_4_2_2_11_3_3_wgs_176_tpt_176_halfLds_dp_op_CI_CI_unitstride_sbrr_C2R_dirReg
	.p2align	8
	.type	fft_rtc_fwd_len1584_factors_4_2_2_11_3_3_wgs_176_tpt_176_halfLds_dp_op_CI_CI_unitstride_sbrr_C2R_dirReg,@function
fft_rtc_fwd_len1584_factors_4_2_2_11_3_3_wgs_176_tpt_176_halfLds_dp_op_CI_CI_unitstride_sbrr_C2R_dirReg: ; @fft_rtc_fwd_len1584_factors_4_2_2_11_3_3_wgs_176_tpt_176_halfLds_dp_op_CI_CI_unitstride_sbrr_C2R_dirReg
; %bb.0:
	s_clause 0x2
	s_load_b128 s[8:11], s[0:1], 0x0
	s_load_b128 s[4:7], s[0:1], 0x58
	;; [unrolled: 1-line block ×3, first 2 shown]
	v_mul_u32_u24_e32 v1, 0x175, v0
	v_mov_b32_e32 v3, 0
	s_delay_alu instid0(VALU_DEP_2) | instskip(NEXT) | instid1(VALU_DEP_1)
	v_lshrrev_b32_e32 v1, 16, v1
	v_add_nc_u32_e32 v5, ttmp9, v1
	v_mov_b32_e32 v1, 0
	v_mov_b32_e32 v2, 0
	;; [unrolled: 1-line block ×3, first 2 shown]
	s_wait_kmcnt 0x0
	v_cmp_lt_u64_e64 s2, s[10:11], 2
	s_delay_alu instid0(VALU_DEP_1)
	s_and_b32 vcc_lo, exec_lo, s2
	s_cbranch_vccnz .LBB0_8
; %bb.1:
	s_load_b64 s[2:3], s[0:1], 0x10
	v_mov_b32_e32 v1, 0
	v_mov_b32_e32 v2, 0
	s_add_nc_u64 s[16:17], s[14:15], 8
	s_add_nc_u64 s[18:19], s[12:13], 8
	s_mov_b64 s[20:21], 1
	s_delay_alu instid0(VALU_DEP_1)
	v_dual_mov_b32 v81, v2 :: v_dual_mov_b32 v80, v1
	s_wait_kmcnt 0x0
	s_add_nc_u64 s[22:23], s[2:3], 8
	s_mov_b32 s3, 0
.LBB0_2:                                ; =>This Inner Loop Header: Depth=1
	s_load_b64 s[24:25], s[22:23], 0x0
                                        ; implicit-def: $vgpr82_vgpr83
	s_mov_b32 s2, exec_lo
	s_wait_kmcnt 0x0
	v_or_b32_e32 v4, s25, v6
	s_delay_alu instid0(VALU_DEP_1)
	v_cmpx_ne_u64_e32 0, v[3:4]
	s_wait_alu 0xfffe
	s_xor_b32 s26, exec_lo, s2
	s_cbranch_execz .LBB0_4
; %bb.3:                                ;   in Loop: Header=BB0_2 Depth=1
	s_cvt_f32_u32 s2, s24
	s_cvt_f32_u32 s27, s25
	s_sub_nc_u64 s[30:31], 0, s[24:25]
	s_wait_alu 0xfffe
	s_delay_alu instid0(SALU_CYCLE_1) | instskip(SKIP_1) | instid1(SALU_CYCLE_2)
	s_fmamk_f32 s2, s27, 0x4f800000, s2
	s_wait_alu 0xfffe
	v_s_rcp_f32 s2, s2
	s_delay_alu instid0(TRANS32_DEP_1) | instskip(SKIP_1) | instid1(SALU_CYCLE_2)
	s_mul_f32 s2, s2, 0x5f7ffffc
	s_wait_alu 0xfffe
	s_mul_f32 s27, s2, 0x2f800000
	s_wait_alu 0xfffe
	s_delay_alu instid0(SALU_CYCLE_2) | instskip(SKIP_1) | instid1(SALU_CYCLE_2)
	s_trunc_f32 s27, s27
	s_wait_alu 0xfffe
	s_fmamk_f32 s2, s27, 0xcf800000, s2
	s_cvt_u32_f32 s29, s27
	s_wait_alu 0xfffe
	s_delay_alu instid0(SALU_CYCLE_1) | instskip(SKIP_1) | instid1(SALU_CYCLE_2)
	s_cvt_u32_f32 s28, s2
	s_wait_alu 0xfffe
	s_mul_u64 s[34:35], s[30:31], s[28:29]
	s_wait_alu 0xfffe
	s_mul_hi_u32 s37, s28, s35
	s_mul_i32 s36, s28, s35
	s_mul_hi_u32 s2, s28, s34
	s_mul_i32 s33, s29, s34
	s_wait_alu 0xfffe
	s_add_nc_u64 s[36:37], s[2:3], s[36:37]
	s_mul_hi_u32 s27, s29, s34
	s_mul_hi_u32 s38, s29, s35
	s_add_co_u32 s2, s36, s33
	s_wait_alu 0xfffe
	s_add_co_ci_u32 s2, s37, s27
	s_mul_i32 s34, s29, s35
	s_add_co_ci_u32 s35, s38, 0
	s_wait_alu 0xfffe
	s_add_nc_u64 s[34:35], s[2:3], s[34:35]
	s_wait_alu 0xfffe
	v_add_co_u32 v4, s2, s28, s34
	s_delay_alu instid0(VALU_DEP_1) | instskip(SKIP_1) | instid1(VALU_DEP_1)
	s_cmp_lg_u32 s2, 0
	s_add_co_ci_u32 s29, s29, s35
	v_readfirstlane_b32 s28, v4
	s_wait_alu 0xfffe
	s_delay_alu instid0(VALU_DEP_1)
	s_mul_u64 s[30:31], s[30:31], s[28:29]
	s_wait_alu 0xfffe
	s_mul_hi_u32 s35, s28, s31
	s_mul_i32 s34, s28, s31
	s_mul_hi_u32 s2, s28, s30
	s_mul_i32 s33, s29, s30
	s_wait_alu 0xfffe
	s_add_nc_u64 s[34:35], s[2:3], s[34:35]
	s_mul_hi_u32 s27, s29, s30
	s_mul_hi_u32 s28, s29, s31
	s_wait_alu 0xfffe
	s_add_co_u32 s2, s34, s33
	s_add_co_ci_u32 s2, s35, s27
	s_mul_i32 s30, s29, s31
	s_add_co_ci_u32 s31, s28, 0
	s_wait_alu 0xfffe
	s_add_nc_u64 s[30:31], s[2:3], s[30:31]
	s_wait_alu 0xfffe
	v_add_co_u32 v4, s2, v4, s30
	s_delay_alu instid0(VALU_DEP_1) | instskip(SKIP_1) | instid1(VALU_DEP_1)
	s_cmp_lg_u32 s2, 0
	s_add_co_ci_u32 s2, s29, s31
	v_mul_hi_u32 v13, v5, v4
	s_wait_alu 0xfffe
	v_mad_co_u64_u32 v[7:8], null, v5, s2, 0
	v_mad_co_u64_u32 v[9:10], null, v6, v4, 0
	;; [unrolled: 1-line block ×3, first 2 shown]
	s_delay_alu instid0(VALU_DEP_3) | instskip(SKIP_1) | instid1(VALU_DEP_4)
	v_add_co_u32 v4, vcc_lo, v13, v7
	s_wait_alu 0xfffd
	v_add_co_ci_u32_e32 v7, vcc_lo, 0, v8, vcc_lo
	s_delay_alu instid0(VALU_DEP_2) | instskip(SKIP_1) | instid1(VALU_DEP_2)
	v_add_co_u32 v4, vcc_lo, v4, v9
	s_wait_alu 0xfffd
	v_add_co_ci_u32_e32 v4, vcc_lo, v7, v10, vcc_lo
	s_wait_alu 0xfffd
	v_add_co_ci_u32_e32 v7, vcc_lo, 0, v12, vcc_lo
	s_delay_alu instid0(VALU_DEP_2) | instskip(SKIP_1) | instid1(VALU_DEP_2)
	v_add_co_u32 v4, vcc_lo, v4, v11
	s_wait_alu 0xfffd
	v_add_co_ci_u32_e32 v9, vcc_lo, 0, v7, vcc_lo
	s_delay_alu instid0(VALU_DEP_2) | instskip(SKIP_1) | instid1(VALU_DEP_3)
	v_mul_lo_u32 v10, s25, v4
	v_mad_co_u64_u32 v[7:8], null, s24, v4, 0
	v_mul_lo_u32 v11, s24, v9
	s_delay_alu instid0(VALU_DEP_2) | instskip(NEXT) | instid1(VALU_DEP_2)
	v_sub_co_u32 v7, vcc_lo, v5, v7
	v_add3_u32 v8, v8, v11, v10
	s_delay_alu instid0(VALU_DEP_1) | instskip(SKIP_1) | instid1(VALU_DEP_1)
	v_sub_nc_u32_e32 v10, v6, v8
	s_wait_alu 0xfffd
	v_subrev_co_ci_u32_e64 v10, s2, s25, v10, vcc_lo
	v_add_co_u32 v11, s2, v4, 2
	s_wait_alu 0xf1ff
	v_add_co_ci_u32_e64 v12, s2, 0, v9, s2
	v_sub_co_u32 v13, s2, v7, s24
	v_sub_co_ci_u32_e32 v8, vcc_lo, v6, v8, vcc_lo
	s_wait_alu 0xf1ff
	v_subrev_co_ci_u32_e64 v10, s2, 0, v10, s2
	s_delay_alu instid0(VALU_DEP_3) | instskip(NEXT) | instid1(VALU_DEP_3)
	v_cmp_le_u32_e32 vcc_lo, s24, v13
	v_cmp_eq_u32_e64 s2, s25, v8
	s_wait_alu 0xfffd
	v_cndmask_b32_e64 v13, 0, -1, vcc_lo
	v_cmp_le_u32_e32 vcc_lo, s25, v10
	s_wait_alu 0xfffd
	v_cndmask_b32_e64 v14, 0, -1, vcc_lo
	v_cmp_le_u32_e32 vcc_lo, s24, v7
	;; [unrolled: 3-line block ×3, first 2 shown]
	s_wait_alu 0xfffd
	v_cndmask_b32_e64 v15, 0, -1, vcc_lo
	v_cmp_eq_u32_e32 vcc_lo, s25, v10
	s_wait_alu 0xf1ff
	s_delay_alu instid0(VALU_DEP_2)
	v_cndmask_b32_e64 v7, v15, v7, s2
	s_wait_alu 0xfffd
	v_cndmask_b32_e32 v10, v14, v13, vcc_lo
	v_add_co_u32 v13, vcc_lo, v4, 1
	s_wait_alu 0xfffd
	v_add_co_ci_u32_e32 v14, vcc_lo, 0, v9, vcc_lo
	s_delay_alu instid0(VALU_DEP_3) | instskip(SKIP_1) | instid1(VALU_DEP_2)
	v_cmp_ne_u32_e32 vcc_lo, 0, v10
	s_wait_alu 0xfffd
	v_cndmask_b32_e32 v8, v14, v12, vcc_lo
	v_cndmask_b32_e32 v10, v13, v11, vcc_lo
	v_cmp_ne_u32_e32 vcc_lo, 0, v7
	s_wait_alu 0xfffd
	s_delay_alu instid0(VALU_DEP_2)
	v_dual_cndmask_b32 v83, v9, v8 :: v_dual_cndmask_b32 v82, v4, v10
.LBB0_4:                                ;   in Loop: Header=BB0_2 Depth=1
	s_wait_alu 0xfffe
	s_and_not1_saveexec_b32 s2, s26
	s_cbranch_execz .LBB0_6
; %bb.5:                                ;   in Loop: Header=BB0_2 Depth=1
	v_cvt_f32_u32_e32 v4, s24
	s_sub_co_i32 s26, 0, s24
	v_mov_b32_e32 v83, v3
	s_delay_alu instid0(VALU_DEP_2) | instskip(NEXT) | instid1(TRANS32_DEP_1)
	v_rcp_iflag_f32_e32 v4, v4
	v_mul_f32_e32 v4, 0x4f7ffffe, v4
	s_delay_alu instid0(VALU_DEP_1) | instskip(SKIP_1) | instid1(VALU_DEP_1)
	v_cvt_u32_f32_e32 v4, v4
	s_wait_alu 0xfffe
	v_mul_lo_u32 v7, s26, v4
	s_delay_alu instid0(VALU_DEP_1) | instskip(NEXT) | instid1(VALU_DEP_1)
	v_mul_hi_u32 v7, v4, v7
	v_add_nc_u32_e32 v4, v4, v7
	s_delay_alu instid0(VALU_DEP_1) | instskip(NEXT) | instid1(VALU_DEP_1)
	v_mul_hi_u32 v4, v5, v4
	v_mul_lo_u32 v7, v4, s24
	v_add_nc_u32_e32 v8, 1, v4
	s_delay_alu instid0(VALU_DEP_2) | instskip(NEXT) | instid1(VALU_DEP_1)
	v_sub_nc_u32_e32 v7, v5, v7
	v_subrev_nc_u32_e32 v9, s24, v7
	v_cmp_le_u32_e32 vcc_lo, s24, v7
	s_wait_alu 0xfffd
	s_delay_alu instid0(VALU_DEP_2) | instskip(NEXT) | instid1(VALU_DEP_1)
	v_dual_cndmask_b32 v7, v7, v9 :: v_dual_cndmask_b32 v4, v4, v8
	v_cmp_le_u32_e32 vcc_lo, s24, v7
	s_delay_alu instid0(VALU_DEP_2) | instskip(SKIP_1) | instid1(VALU_DEP_1)
	v_add_nc_u32_e32 v8, 1, v4
	s_wait_alu 0xfffd
	v_cndmask_b32_e32 v82, v4, v8, vcc_lo
.LBB0_6:                                ;   in Loop: Header=BB0_2 Depth=1
	s_wait_alu 0xfffe
	s_or_b32 exec_lo, exec_lo, s2
	v_mul_lo_u32 v4, v83, s24
	s_delay_alu instid0(VALU_DEP_2)
	v_mul_lo_u32 v9, v82, s25
	s_load_b64 s[26:27], s[18:19], 0x0
	v_mad_co_u64_u32 v[7:8], null, v82, s24, 0
	s_load_b64 s[24:25], s[16:17], 0x0
	s_add_nc_u64 s[20:21], s[20:21], 1
	s_add_nc_u64 s[16:17], s[16:17], 8
	s_wait_alu 0xfffe
	v_cmp_ge_u64_e64 s2, s[20:21], s[10:11]
	s_add_nc_u64 s[18:19], s[18:19], 8
	s_add_nc_u64 s[22:23], s[22:23], 8
	v_add3_u32 v4, v8, v9, v4
	v_sub_co_u32 v5, vcc_lo, v5, v7
	s_wait_alu 0xfffd
	s_delay_alu instid0(VALU_DEP_2) | instskip(SKIP_2) | instid1(VALU_DEP_1)
	v_sub_co_ci_u32_e32 v4, vcc_lo, v6, v4, vcc_lo
	s_and_b32 vcc_lo, exec_lo, s2
	s_wait_kmcnt 0x0
	v_mul_lo_u32 v6, s26, v4
	v_mul_lo_u32 v7, s27, v5
	v_mad_co_u64_u32 v[1:2], null, s26, v5, v[1:2]
	v_mul_lo_u32 v4, s24, v4
	v_mul_lo_u32 v8, s25, v5
	v_mad_co_u64_u32 v[80:81], null, s24, v5, v[80:81]
	s_delay_alu instid0(VALU_DEP_4) | instskip(NEXT) | instid1(VALU_DEP_2)
	v_add3_u32 v2, v7, v2, v6
	v_add3_u32 v81, v8, v81, v4
	s_wait_alu 0xfffe
	s_cbranch_vccnz .LBB0_9
; %bb.7:                                ;   in Loop: Header=BB0_2 Depth=1
	v_dual_mov_b32 v5, v82 :: v_dual_mov_b32 v6, v83
	s_branch .LBB0_2
.LBB0_8:
	v_dual_mov_b32 v81, v2 :: v_dual_mov_b32 v80, v1
	v_dual_mov_b32 v83, v6 :: v_dual_mov_b32 v82, v5
.LBB0_9:
	s_load_b64 s[0:1], s[0:1], 0x28
	v_mul_hi_u32 v3, 0x1745d18, v0
	s_lshl_b64 s[10:11], s[10:11], 3
                                        ; implicit-def: $vgpr84
	s_wait_alu 0xfffe
	s_add_nc_u64 s[2:3], s[14:15], s[10:11]
	s_wait_kmcnt 0x0
	v_cmp_gt_u64_e32 vcc_lo, s[0:1], v[82:83]
	v_cmp_le_u64_e64 s0, s[0:1], v[82:83]
	s_delay_alu instid0(VALU_DEP_1)
	s_and_saveexec_b32 s1, s0
	s_wait_alu 0xfffe
	s_xor_b32 s0, exec_lo, s1
; %bb.10:
	v_mul_u32_u24_e32 v1, 0xb0, v3
                                        ; implicit-def: $vgpr3
	s_delay_alu instid0(VALU_DEP_1)
	v_sub_nc_u32_e32 v84, v0, v1
                                        ; implicit-def: $vgpr0
                                        ; implicit-def: $vgpr1_vgpr2
; %bb.11:
	s_wait_alu 0xfffe
	s_or_saveexec_b32 s1, s0
	s_load_b64 s[2:3], s[2:3], 0x0
	s_xor_b32 exec_lo, exec_lo, s1
	s_cbranch_execz .LBB0_15
; %bb.12:
	s_add_nc_u64 s[10:11], s[12:13], s[10:11]
	v_lshlrev_b64_e32 v[1:2], 4, v[1:2]
	s_load_b64 s[10:11], s[10:11], 0x0
	s_wait_kmcnt 0x0
	v_mul_lo_u32 v6, s11, v82
	v_mul_lo_u32 v7, s10, v83
	v_mad_co_u64_u32 v[4:5], null, s10, v82, 0
	s_delay_alu instid0(VALU_DEP_1) | instskip(SKIP_1) | instid1(VALU_DEP_2)
	v_add3_u32 v5, v5, v7, v6
	v_mul_u32_u24_e32 v6, 0xb0, v3
	v_lshlrev_b64_e32 v[3:4], 4, v[4:5]
	s_delay_alu instid0(VALU_DEP_2) | instskip(NEXT) | instid1(VALU_DEP_1)
	v_sub_nc_u32_e32 v84, v0, v6
	v_lshlrev_b32_e32 v38, 4, v84
	s_delay_alu instid0(VALU_DEP_3) | instskip(SKIP_1) | instid1(VALU_DEP_4)
	v_add_co_u32 v0, s0, s4, v3
	s_wait_alu 0xf1ff
	v_add_co_ci_u32_e64 v3, s0, s5, v4, s0
	s_mov_b32 s4, exec_lo
	s_delay_alu instid0(VALU_DEP_2) | instskip(SKIP_1) | instid1(VALU_DEP_2)
	v_add_co_u32 v0, s0, v0, v1
	s_wait_alu 0xf1ff
	v_add_co_ci_u32_e64 v1, s0, v3, v2, s0
	s_delay_alu instid0(VALU_DEP_2) | instskip(SKIP_1) | instid1(VALU_DEP_2)
	v_add_co_u32 v34, s0, v0, v38
	s_wait_alu 0xf1ff
	v_add_co_ci_u32_e64 v35, s0, 0, v1, s0
	s_clause 0x8
	global_load_b128 v[2:5], v[34:35], off
	global_load_b128 v[6:9], v[34:35], off offset:2816
	global_load_b128 v[10:13], v[34:35], off offset:5632
	global_load_b128 v[14:17], v[34:35], off offset:8448
	global_load_b128 v[18:21], v[34:35], off offset:11264
	global_load_b128 v[22:25], v[34:35], off offset:14080
	global_load_b128 v[26:29], v[34:35], off offset:16896
	global_load_b128 v[30:33], v[34:35], off offset:19712
	global_load_b128 v[34:37], v[34:35], off offset:22528
	v_add_nc_u32_e32 v38, 0, v38
	s_wait_loadcnt 0x8
	ds_store_b128 v38, v[2:5]
	s_wait_loadcnt 0x7
	ds_store_b128 v38, v[6:9] offset:2816
	s_wait_loadcnt 0x6
	ds_store_b128 v38, v[10:13] offset:5632
	;; [unrolled: 2-line block ×8, first 2 shown]
	v_cmpx_eq_u32_e32 0xaf, v84
	s_cbranch_execz .LBB0_14
; %bb.13:
	global_load_b128 v[0:3], v[0:1], off offset:25344
	v_mov_b32_e32 v4, 0
	v_mov_b32_e32 v84, 0xaf
	s_wait_loadcnt 0x0
	ds_store_b128 v4, v[0:3] offset:25344
.LBB0_14:
	s_wait_alu 0xfffe
	s_or_b32 exec_lo, exec_lo, s4
.LBB0_15:
	s_delay_alu instid0(SALU_CYCLE_1)
	s_or_b32 exec_lo, exec_lo, s1
	v_lshlrev_b32_e32 v0, 4, v84
	global_wb scope:SCOPE_SE
	s_wait_dscnt 0x0
	s_wait_kmcnt 0x0
	s_barrier_signal -1
	s_barrier_wait -1
	global_inv scope:SCOPE_SE
	v_add_nc_u32_e32 v90, 0, v0
	v_sub_nc_u32_e32 v10, 0, v0
	s_mov_b32 s1, exec_lo
                                        ; implicit-def: $vgpr4_vgpr5
	ds_load_b64 v[6:7], v90
	ds_load_b64 v[8:9], v10 offset:25344
	s_wait_dscnt 0x0
	v_add_f64_e32 v[0:1], v[6:7], v[8:9]
	v_add_f64_e64 v[2:3], v[6:7], -v[8:9]
	v_cmpx_ne_u32_e32 0, v84
	s_wait_alu 0xfffe
	s_xor_b32 s1, exec_lo, s1
	s_cbranch_execz .LBB0_17
; %bb.16:
	v_mov_b32_e32 v85, 0
	v_add_f64_e32 v[13:14], v[6:7], v[8:9]
	v_add_f64_e64 v[15:16], v[6:7], -v[8:9]
	s_delay_alu instid0(VALU_DEP_3) | instskip(NEXT) | instid1(VALU_DEP_1)
	v_lshlrev_b64_e32 v[0:1], 4, v[84:85]
	v_add_co_u32 v0, s0, s8, v0
	s_wait_alu 0xf1ff
	s_delay_alu instid0(VALU_DEP_2)
	v_add_co_ci_u32_e64 v1, s0, s9, v1, s0
	global_load_b128 v[2:5], v[0:1], off offset:25280
	ds_load_b64 v[0:1], v10 offset:25352
	ds_load_b64 v[11:12], v90 offset:8
	s_wait_dscnt 0x0
	v_add_f64_e32 v[6:7], v[0:1], v[11:12]
	v_add_f64_e64 v[0:1], v[11:12], -v[0:1]
	s_wait_loadcnt 0x0
	v_fma_f64 v[8:9], v[15:16], v[4:5], v[13:14]
	v_fma_f64 v[11:12], -v[15:16], v[4:5], v[13:14]
	s_delay_alu instid0(VALU_DEP_3) | instskip(SKIP_1) | instid1(VALU_DEP_4)
	v_fma_f64 v[13:14], v[6:7], v[4:5], -v[0:1]
	v_fma_f64 v[4:5], v[6:7], v[4:5], v[0:1]
	v_fma_f64 v[0:1], -v[6:7], v[2:3], v[8:9]
	s_delay_alu instid0(VALU_DEP_4) | instskip(NEXT) | instid1(VALU_DEP_4)
	v_fma_f64 v[6:7], v[6:7], v[2:3], v[11:12]
	v_fma_f64 v[8:9], v[15:16], v[2:3], v[13:14]
	s_delay_alu instid0(VALU_DEP_4)
	v_fma_f64 v[2:3], v[15:16], v[2:3], v[4:5]
	v_dual_mov_b32 v4, v84 :: v_dual_mov_b32 v5, v85
	ds_store_b128 v10, v[6:9] offset:25344
.LBB0_17:
	s_wait_alu 0xfffe
	s_and_not1_saveexec_b32 s0, s1
	s_cbranch_execz .LBB0_19
; %bb.18:
	v_mov_b32_e32 v8, 0
	ds_load_b128 v[4:7], v8 offset:12672
	s_wait_dscnt 0x0
	v_add_f64_e32 v[11:12], v[4:5], v[4:5]
	v_mul_f64_e32 v[13:14], -2.0, v[6:7]
	v_mov_b32_e32 v4, 0
	v_mov_b32_e32 v5, 0
	ds_store_b128 v8, v[11:14] offset:12672
.LBB0_19:
	s_wait_alu 0xfffe
	s_or_b32 exec_lo, exec_lo, s0
	v_lshlrev_b64_e32 v[4:5], 4, v[4:5]
	s_add_nc_u64 s[0:1], s[8:9], 0x62c0
	s_wait_alu 0xfffe
	s_delay_alu instid0(VALU_DEP_1) | instskip(SKIP_1) | instid1(VALU_DEP_2)
	v_add_co_u32 v4, s0, s0, v4
	s_wait_alu 0xf1ff
	v_add_co_ci_u32_e64 v5, s0, s1, v5, s0
	v_cmp_gt_u32_e64 s0, 0x58, v84
	s_clause 0x1
	global_load_b128 v[6:9], v[4:5], off offset:2816
	global_load_b128 v[11:14], v[4:5], off offset:5632
	ds_store_b128 v90, v[0:3]
	ds_load_b128 v[0:3], v90 offset:2816
	ds_load_b128 v[15:18], v10 offset:22528
	global_load_b128 v[19:22], v[4:5], off offset:8448
	s_wait_dscnt 0x0
	v_add_f64_e32 v[23:24], v[0:1], v[15:16]
	v_add_f64_e32 v[25:26], v[17:18], v[2:3]
	v_add_f64_e64 v[27:28], v[0:1], -v[15:16]
	v_add_f64_e64 v[0:1], v[2:3], -v[17:18]
	s_wait_loadcnt 0x2
	s_delay_alu instid0(VALU_DEP_2) | instskip(NEXT) | instid1(VALU_DEP_2)
	v_fma_f64 v[2:3], v[27:28], v[8:9], v[23:24]
	v_fma_f64 v[15:16], v[25:26], v[8:9], v[0:1]
	v_fma_f64 v[17:18], -v[27:28], v[8:9], v[23:24]
	v_fma_f64 v[8:9], v[25:26], v[8:9], -v[0:1]
	s_delay_alu instid0(VALU_DEP_4) | instskip(NEXT) | instid1(VALU_DEP_4)
	v_fma_f64 v[0:1], -v[25:26], v[6:7], v[2:3]
	v_fma_f64 v[2:3], v[27:28], v[6:7], v[15:16]
	s_delay_alu instid0(VALU_DEP_4) | instskip(NEXT) | instid1(VALU_DEP_4)
	v_fma_f64 v[15:16], v[25:26], v[6:7], v[17:18]
	v_fma_f64 v[17:18], v[27:28], v[6:7], v[8:9]
	ds_store_b128 v90, v[0:3] offset:2816
	ds_store_b128 v10, v[15:18] offset:22528
	ds_load_b128 v[0:3], v90 offset:5632
	ds_load_b128 v[6:9], v10 offset:19712
	s_wait_dscnt 0x0
	v_add_f64_e32 v[15:16], v[0:1], v[6:7]
	v_add_f64_e32 v[17:18], v[8:9], v[2:3]
	v_add_f64_e64 v[23:24], v[0:1], -v[6:7]
	v_add_f64_e64 v[0:1], v[2:3], -v[8:9]
	s_wait_loadcnt 0x1
	s_delay_alu instid0(VALU_DEP_2) | instskip(NEXT) | instid1(VALU_DEP_2)
	v_fma_f64 v[2:3], v[23:24], v[13:14], v[15:16]
	v_fma_f64 v[6:7], v[17:18], v[13:14], v[0:1]
	v_fma_f64 v[8:9], -v[23:24], v[13:14], v[15:16]
	v_fma_f64 v[13:14], v[17:18], v[13:14], -v[0:1]
	s_delay_alu instid0(VALU_DEP_4) | instskip(NEXT) | instid1(VALU_DEP_4)
	v_fma_f64 v[0:1], -v[17:18], v[11:12], v[2:3]
	v_fma_f64 v[2:3], v[23:24], v[11:12], v[6:7]
	s_delay_alu instid0(VALU_DEP_4) | instskip(NEXT) | instid1(VALU_DEP_4)
	v_fma_f64 v[6:7], v[17:18], v[11:12], v[8:9]
	v_fma_f64 v[8:9], v[23:24], v[11:12], v[13:14]
	ds_store_b128 v90, v[0:3] offset:5632
	ds_store_b128 v10, v[6:9] offset:19712
	ds_load_b128 v[0:3], v90 offset:8448
	ds_load_b128 v[6:9], v10 offset:16896
	s_wait_dscnt 0x0
	v_add_f64_e32 v[11:12], v[0:1], v[6:7]
	v_add_f64_e32 v[13:14], v[8:9], v[2:3]
	v_add_f64_e64 v[15:16], v[0:1], -v[6:7]
	v_add_f64_e64 v[0:1], v[2:3], -v[8:9]
	s_wait_loadcnt 0x0
	s_delay_alu instid0(VALU_DEP_2) | instskip(NEXT) | instid1(VALU_DEP_2)
	v_fma_f64 v[2:3], v[15:16], v[21:22], v[11:12]
	v_fma_f64 v[6:7], v[13:14], v[21:22], v[0:1]
	v_fma_f64 v[8:9], -v[15:16], v[21:22], v[11:12]
	v_fma_f64 v[11:12], v[13:14], v[21:22], -v[0:1]
	s_delay_alu instid0(VALU_DEP_4) | instskip(NEXT) | instid1(VALU_DEP_4)
	v_fma_f64 v[0:1], -v[13:14], v[19:20], v[2:3]
	v_fma_f64 v[2:3], v[15:16], v[19:20], v[6:7]
	s_delay_alu instid0(VALU_DEP_4) | instskip(NEXT) | instid1(VALU_DEP_4)
	v_fma_f64 v[6:7], v[13:14], v[19:20], v[8:9]
	v_fma_f64 v[8:9], v[15:16], v[19:20], v[11:12]
	ds_store_b128 v90, v[0:3] offset:8448
	ds_store_b128 v10, v[6:9] offset:16896
	s_and_saveexec_b32 s1, s0
	s_cbranch_execz .LBB0_21
; %bb.20:
	global_load_b128 v[0:3], v[4:5], off offset:11264
	ds_load_b128 v[4:7], v90 offset:11264
	ds_load_b128 v[11:14], v10 offset:14080
	s_wait_dscnt 0x0
	v_add_f64_e32 v[8:9], v[4:5], v[11:12]
	v_add_f64_e32 v[15:16], v[13:14], v[6:7]
	v_add_f64_e64 v[11:12], v[4:5], -v[11:12]
	v_add_f64_e64 v[4:5], v[6:7], -v[13:14]
	s_wait_loadcnt 0x0
	s_delay_alu instid0(VALU_DEP_2) | instskip(NEXT) | instid1(VALU_DEP_2)
	v_fma_f64 v[6:7], v[11:12], v[2:3], v[8:9]
	v_fma_f64 v[13:14], v[15:16], v[2:3], v[4:5]
	v_fma_f64 v[8:9], -v[11:12], v[2:3], v[8:9]
	v_fma_f64 v[17:18], v[15:16], v[2:3], -v[4:5]
	s_delay_alu instid0(VALU_DEP_4) | instskip(NEXT) | instid1(VALU_DEP_4)
	v_fma_f64 v[2:3], -v[15:16], v[0:1], v[6:7]
	v_fma_f64 v[4:5], v[11:12], v[0:1], v[13:14]
	s_delay_alu instid0(VALU_DEP_4) | instskip(NEXT) | instid1(VALU_DEP_4)
	v_fma_f64 v[6:7], v[15:16], v[0:1], v[8:9]
	v_fma_f64 v[8:9], v[11:12], v[0:1], v[17:18]
	ds_store_b128 v90, v[2:5] offset:11264
	ds_store_b128 v10, v[6:9] offset:14080
.LBB0_21:
	s_wait_alu 0xfffe
	s_or_b32 exec_lo, exec_lo, s1
	global_wb scope:SCOPE_SE
	s_wait_dscnt 0x0
	s_barrier_signal -1
	s_barrier_wait -1
	global_inv scope:SCOPE_SE
	global_wb scope:SCOPE_SE
	s_barrier_signal -1
	s_barrier_wait -1
	global_inv scope:SCOPE_SE
	ds_load_b128 v[0:3], v90 offset:12672
	ds_load_b128 v[4:7], v90
	ds_load_b128 v[8:11], v90 offset:6336
	ds_load_b128 v[12:15], v90 offset:19008
	;; [unrolled: 1-line block ×10, first 2 shown]
	v_add_nc_u32_e32 v89, 0x160, v84
	s_mov_b32 s4, exec_lo
	global_wb scope:SCOPE_SE
	s_wait_dscnt 0x0
	s_barrier_signal -1
	s_barrier_wait -1
	global_inv scope:SCOPE_SE
	v_add_f64_e64 v[48:49], v[4:5], -v[0:1]
	v_add_f64_e64 v[50:51], v[6:7], -v[2:3]
	;; [unrolled: 1-line block ×12, first 2 shown]
	v_fma_f64 v[4:5], v[4:5], 2.0, -v[48:49]
	v_fma_f64 v[6:7], v[6:7], 2.0, -v[50:51]
	v_fma_f64 v[8:9], v[8:9], 2.0, -v[0:1]
	v_fma_f64 v[10:11], v[10:11], 2.0, -v[2:3]
	v_fma_f64 v[44:45], v[16:17], 2.0, -v[52:53]
	v_fma_f64 v[60:61], v[18:19], 2.0, -v[54:55]
	v_fma_f64 v[28:29], v[24:25], 2.0, -v[12:13]
	v_fma_f64 v[30:31], v[26:27], 2.0, -v[14:15]
	v_fma_f64 v[62:63], v[32:33], 2.0, -v[56:57]
	v_fma_f64 v[64:65], v[34:35], 2.0, -v[58:59]
	v_fma_f64 v[32:33], v[40:41], 2.0, -v[36:37]
	v_fma_f64 v[34:35], v[42:43], 2.0, -v[38:39]
	v_add_f64_e64 v[16:17], v[48:49], -v[2:3]
	v_add_f64_e32 v[18:19], v[50:51], v[0:1]
	v_add_f64_e64 v[20:21], v[52:53], -v[14:15]
	v_add_f64_e32 v[22:23], v[54:55], v[12:13]
	;; [unrolled: 2-line block ×3, first 2 shown]
	v_add_f64_e64 v[24:25], v[4:5], -v[8:9]
	v_add_f64_e64 v[26:27], v[6:7], -v[10:11]
	;; [unrolled: 1-line block ×6, first 2 shown]
	v_fma_f64 v[32:33], v[48:49], 2.0, -v[16:17]
	v_fma_f64 v[34:35], v[50:51], 2.0, -v[18:19]
	;; [unrolled: 1-line block ×10, first 2 shown]
	v_add_nc_u32_e32 v44, 0xb0, v84
	v_mad_u32_u24 v45, v84, 48, v90
	v_fma_f64 v[4:5], v[62:63], 2.0, -v[0:1]
	v_fma_f64 v[6:7], v[64:65], 2.0, -v[2:3]
	s_delay_alu instid0(VALU_DEP_4)
	v_lshl_add_u32 v50, v44, 6, 0
	ds_store_b128 v45, v[24:27] offset:32
	ds_store_b128 v45, v[16:19] offset:48
	ds_store_b128 v45, v[40:43]
	ds_store_b128 v45, v[32:35] offset:16
	ds_store_b128 v50, v[46:49]
	ds_store_b128 v50, v[36:39] offset:16
	ds_store_b128 v50, v[28:31] offset:32
	;; [unrolled: 1-line block ×3, first 2 shown]
	v_cmpx_gt_u32_e32 44, v84
	s_cbranch_execz .LBB0_23
; %bb.22:
	v_lshl_add_u32 v16, v89, 6, 0
	ds_store_b128 v16, v[4:7]
	ds_store_b128 v16, v[8:11] offset:16
	ds_store_b128 v16, v[0:3] offset:32
	ds_store_b128 v16, v[12:15] offset:48
.LBB0_23:
	s_wait_alu 0xfffe
	s_or_b32 exec_lo, exec_lo, s4
	global_wb scope:SCOPE_SE
	s_wait_dscnt 0x0
	s_barrier_signal -1
	s_barrier_wait -1
	global_inv scope:SCOPE_SE
	ds_load_b128 v[12:15], v90
	ds_load_b128 v[16:19], v90 offset:2816
	ds_load_b128 v[32:35], v90 offset:12672
	ds_load_b128 v[28:31], v90 offset:15488
	ds_load_b128 v[20:23], v90 offset:5632
	ds_load_b128 v[24:27], v90 offset:8448
	ds_load_b128 v[40:43], v90 offset:18304
	ds_load_b128 v[36:39], v90 offset:21120
	s_and_saveexec_b32 s1, s0
	s_cbranch_execz .LBB0_25
; %bb.24:
	v_mad_i32_i24 v4, 0xffffffd0, v84, v45
	ds_load_b128 v[4:7], v4 offset:11264
	ds_load_b128 v[8:11], v90 offset:23936
.LBB0_25:
	s_wait_alu 0xfffe
	s_or_b32 exec_lo, exec_lo, s1
	v_and_b32_e32 v46, 3, v84
	v_lshlrev_b32_e32 v86, 1, v84
	v_lshlrev_b32_e32 v85, 1, v44
	;; [unrolled: 1-line block ×3, first 2 shown]
	s_delay_alu instid0(VALU_DEP_4)
	v_lshlrev_b32_e32 v45, 4, v46
	global_load_b128 v[47:50], v45, s[8:9]
	v_add_nc_u32_e32 v45, 0x420, v86
	global_wb scope:SCOPE_SE
	s_wait_loadcnt_dscnt 0x0
	s_barrier_signal -1
	s_barrier_wait -1
	global_inv scope:SCOPE_SE
	v_mul_f64_e32 v[51:52], v[34:35], v[49:50]
	v_mul_f64_e32 v[53:54], v[32:33], v[49:50]
	;; [unrolled: 1-line block ×10, first 2 shown]
	v_fma_f64 v[32:33], v[32:33], v[47:48], -v[51:52]
	v_fma_f64 v[34:35], v[34:35], v[47:48], v[53:54]
	v_fma_f64 v[51:52], v[28:29], v[47:48], -v[55:56]
	v_fma_f64 v[53:54], v[30:31], v[47:48], v[57:58]
	;; [unrolled: 2-line block ×5, first 2 shown]
	v_add_f64_e64 v[28:29], v[12:13], -v[32:33]
	v_add_f64_e64 v[30:31], v[14:15], -v[34:35]
	;; [unrolled: 1-line block ×10, first 2 shown]
	v_fma_f64 v[12:13], v[12:13], 2.0, -v[28:29]
	v_fma_f64 v[14:15], v[14:15], 2.0, -v[30:31]
	;; [unrolled: 1-line block ×10, first 2 shown]
	v_add_nc_u32_e32 v4, 0x2c0, v84
	v_and_or_b32 v5, 0x1f8, v86, v46
	v_and_or_b32 v6, 0x3f8, v85, v46
	;; [unrolled: 1-line block ×3, first 2 shown]
	s_delay_alu instid0(VALU_DEP_4) | instskip(SKIP_4) | instid1(VALU_DEP_4)
	v_lshlrev_b32_e32 v44, 1, v4
	v_and_or_b32 v4, 0x7f8, v45, v46
	v_lshl_add_u32 v5, v5, 4, 0
	v_lshl_add_u32 v6, v6, 4, 0
	;; [unrolled: 1-line block ×4, first 2 shown]
	ds_store_b128 v5, v[12:15]
	ds_store_b128 v5, v[28:31] offset:64
	ds_store_b128 v6, v[16:19]
	ds_store_b128 v6, v[32:35] offset:64
	ds_store_b128 v7, v[20:23]
	ds_store_b128 v7, v[40:43] offset:64
	ds_store_b128 v4, v[24:27]
	ds_store_b128 v4, v[47:50] offset:64
	s_and_saveexec_b32 s1, s0
	s_cbranch_execz .LBB0_27
; %bb.26:
	v_and_or_b32 v4, 0x7f8, v44, v46
	s_delay_alu instid0(VALU_DEP_1)
	v_lshl_add_u32 v4, v4, 4, 0
	ds_store_b128 v4, v[36:39]
	ds_store_b128 v4, v[8:11] offset:64
.LBB0_27:
	s_wait_alu 0xfffe
	s_or_b32 exec_lo, exec_lo, s1
	global_wb scope:SCOPE_SE
	s_wait_dscnt 0x0
	s_barrier_signal -1
	s_barrier_wait -1
	global_inv scope:SCOPE_SE
	ds_load_b128 v[4:7], v90
	ds_load_b128 v[16:19], v90 offset:2816
	ds_load_b128 v[24:27], v90 offset:12672
	;; [unrolled: 1-line block ×7, first 2 shown]
	s_and_saveexec_b32 s1, s0
	s_cbranch_execz .LBB0_29
; %bb.28:
	ds_load_b128 v[36:39], v90 offset:11264
	ds_load_b128 v[8:11], v90 offset:23936
.LBB0_29:
	s_wait_alu 0xfffe
	s_or_b32 exec_lo, exec_lo, s1
	v_and_b32_e32 v46, 7, v84
	s_delay_alu instid0(VALU_DEP_1)
	v_lshlrev_b32_e32 v47, 4, v46
	v_and_or_b32 v45, 0x7f0, v45, v46
	global_load_b128 v[47:50], v47, s[8:9] offset:64
	global_wb scope:SCOPE_SE
	s_wait_loadcnt_dscnt 0x0
	s_barrier_signal -1
	s_barrier_wait -1
	global_inv scope:SCOPE_SE
	v_lshl_add_u32 v45, v45, 4, 0
	v_mul_f64_e32 v[51:52], v[26:27], v[49:50]
	v_mul_f64_e32 v[53:54], v[24:25], v[49:50]
	;; [unrolled: 1-line block ×10, first 2 shown]
	v_fma_f64 v[24:25], v[24:25], v[47:48], -v[51:52]
	v_fma_f64 v[26:27], v[26:27], v[47:48], v[53:54]
	v_fma_f64 v[12:13], v[12:13], v[47:48], -v[55:56]
	v_fma_f64 v[14:15], v[14:15], v[47:48], v[57:58]
	;; [unrolled: 2-line block ×5, first 2 shown]
	v_and_or_b32 v49, 0x7f0, v88, v46
	s_delay_alu instid0(VALU_DEP_1)
	v_lshl_add_u32 v49, v49, 4, 0
	v_add_f64_e64 v[40:41], v[4:5], -v[24:25]
	v_add_f64_e64 v[42:43], v[6:7], -v[26:27]
	;; [unrolled: 1-line block ×10, first 2 shown]
	v_and_or_b32 v47, 0x1f0, v86, v46
	v_and_or_b32 v48, 0x3f0, v85, v46
	s_delay_alu instid0(VALU_DEP_2) | instskip(NEXT) | instid1(VALU_DEP_2)
	v_lshl_add_u32 v47, v47, 4, 0
	v_lshl_add_u32 v48, v48, 4, 0
	v_fma_f64 v[4:5], v[4:5], 2.0, -v[40:41]
	v_fma_f64 v[6:7], v[6:7], 2.0, -v[42:43]
	;; [unrolled: 1-line block ×10, first 2 shown]
	ds_store_b128 v47, v[4:7]
	ds_store_b128 v47, v[40:43] offset:128
	ds_store_b128 v48, v[16:19]
	ds_store_b128 v48, v[8:11] offset:128
	;; [unrolled: 2-line block ×4, first 2 shown]
	s_and_saveexec_b32 s1, s0
	s_cbranch_execz .LBB0_31
; %bb.30:
	v_and_or_b32 v44, 0x7f0, v44, v46
	s_delay_alu instid0(VALU_DEP_1)
	v_lshl_add_u32 v44, v44, 4, 0
	ds_store_b128 v44, v[36:39]
	ds_store_b128 v44, v[32:35] offset:128
.LBB0_31:
	s_wait_alu 0xfffe
	s_or_b32 exec_lo, exec_lo, s1
	v_cmp_gt_u32_e64 s0, 0x90, v84
	global_wb scope:SCOPE_SE
	s_wait_dscnt 0x0
	s_barrier_signal -1
	s_barrier_wait -1
	global_inv scope:SCOPE_SE
	s_and_saveexec_b32 s1, s0
	s_cbranch_execz .LBB0_33
; %bb.32:
	ds_load_b128 v[4:7], v90
	ds_load_b128 v[40:43], v90 offset:2304
	ds_load_b128 v[16:19], v90 offset:4608
	;; [unrolled: 1-line block ×10, first 2 shown]
.LBB0_33:
	s_wait_alu 0xfffe
	s_or_b32 exec_lo, exec_lo, s1
	global_wb scope:SCOPE_SE
	s_wait_dscnt 0x0
	s_barrier_signal -1
	s_barrier_wait -1
	global_inv scope:SCOPE_SE
	s_and_saveexec_b32 s33, s0
	s_cbranch_execz .LBB0_35
; %bb.34:
	v_and_b32_e32 v87, 15, v84
	s_mov_b32 s0, 0x640f44db
	s_mov_b32 s4, 0xd9c712b6
	;; [unrolled: 1-line block ×4, first 2 shown]
	v_mul_u32_u24_e32 v44, 10, v87
	s_mov_b32 s20, 0xbb3a28a1
	s_mov_b32 s18, 0x9bcd5057
	;; [unrolled: 1-line block ×4, first 2 shown]
	v_lshlrev_b32_e32 v72, 4, v44
	s_mov_b32 s10, 0x43842ef
	s_mov_b32 s5, 0x3fda9628
	;; [unrolled: 1-line block ×4, first 2 shown]
	s_clause 0x9
	global_load_b128 v[91:94], v72, s[8:9] offset:192
	global_load_b128 v[76:79], v72, s[8:9] offset:208
	global_load_b128 v[64:67], v72, s[8:9] offset:336
	global_load_b128 v[68:71], v72, s[8:9] offset:256
	global_load_b128 v[60:63], v72, s[8:9] offset:272
	global_load_b128 v[48:51], v72, s[8:9] offset:240
	global_load_b128 v[56:59], v72, s[8:9] offset:288
	global_load_b128 v[52:55], v72, s[8:9] offset:224
	global_load_b128 v[44:47], v72, s[8:9] offset:304
	global_load_b128 v[72:75], v72, s[8:9] offset:320
	s_mov_b32 s21, 0x3fe82f19
	s_mov_b32 s19, 0xbfeeb42a
	;; [unrolled: 1-line block ×5, first 2 shown]
	s_wait_alu 0xfffe
	s_mov_b32 s26, s20
	s_mov_b32 s24, s22
	;; [unrolled: 1-line block ×12, first 2 shown]
	s_wait_alu 0xfffe
	s_mov_b32 s30, s28
	s_wait_loadcnt 0x9
	v_mul_f64_e32 v[95:96], v[40:41], v[93:94]
	v_mul_f64_e32 v[93:94], v[42:43], v[93:94]
	s_wait_loadcnt 0x8
	v_mul_f64_e32 v[97:98], v[16:17], v[78:79]
	v_mul_f64_e32 v[78:79], v[18:19], v[78:79]
	;; [unrolled: 3-line block ×3, first 2 shown]
	s_wait_loadcnt 0x5
	v_mul_f64_e32 v[101:102], v[28:29], v[62:63]
	s_wait_loadcnt 0x2
	v_mul_f64_e32 v[103:104], v[8:9], v[54:55]
	s_wait_loadcnt 0x1
	v_mul_f64_e32 v[105:106], v[36:37], v[46:47]
	v_mul_f64_e32 v[54:55], v[10:11], v[54:55]
	s_wait_loadcnt 0x0
	v_mul_f64_e32 v[107:108], v[32:33], v[74:75]
	v_mul_f64_e32 v[46:47], v[38:39], v[46:47]
	;; [unrolled: 1-line block ×4, first 2 shown]
	v_fma_f64 v[42:43], v[42:43], v[91:92], v[95:96]
	v_mul_f64_e32 v[95:96], v[0:1], v[66:67]
	v_fma_f64 v[40:41], v[40:41], v[91:92], -v[93:94]
	v_mul_f64_e32 v[93:94], v[24:25], v[58:59]
	v_mul_f64_e32 v[66:67], v[2:3], v[66:67]
	;; [unrolled: 1-line block ×3, first 2 shown]
	v_fma_f64 v[97:98], v[18:19], v[76:77], v[97:98]
	v_fma_f64 v[76:77], v[16:17], v[76:77], -v[78:79]
	v_mul_f64_e32 v[91:92], v[20:21], v[50:51]
	v_mul_f64_e32 v[50:51], v[22:23], v[50:51]
	v_fma_f64 v[30:31], v[30:31], v[60:61], v[101:102]
	v_fma_f64 v[28:29], v[28:29], v[60:61], -v[62:63]
	v_add_f64_e32 v[109:110], v[6:7], v[42:43]
	v_fma_f64 v[2:3], v[2:3], v[64:65], v[95:96]
	v_add_f64_e32 v[78:79], v[4:5], v[40:41]
	v_fma_f64 v[95:96], v[14:15], v[68:69], v[99:100]
	v_fma_f64 v[16:17], v[26:27], v[56:57], v[93:94]
	v_fma_f64 v[26:27], v[12:13], v[68:69], -v[70:71]
	v_fma_f64 v[0:1], v[0:1], v[64:65], -v[66:67]
	v_fma_f64 v[64:65], v[10:11], v[52:53], v[103:104]
	v_fma_f64 v[12:13], v[38:39], v[44:45], v[105:106]
	v_fma_f64 v[18:19], v[24:25], v[56:57], -v[58:59]
	v_fma_f64 v[24:25], v[8:9], v[52:53], -v[54:55]
	v_fma_f64 v[8:9], v[34:35], v[72:73], v[107:108]
	v_fma_f64 v[14:15], v[36:37], v[44:45], -v[46:47]
	v_fma_f64 v[10:11], v[32:33], v[72:73], -v[74:75]
	v_fma_f64 v[22:23], v[22:23], v[48:49], v[91:92]
	v_fma_f64 v[20:21], v[20:21], v[48:49], -v[50:51]
	v_add_f64_e32 v[32:33], v[109:110], v[97:98]
	v_add_f64_e32 v[34:35], v[42:43], v[2:3]
	v_add_f64_e64 v[36:37], v[42:43], -v[2:3]
	v_add_f64_e32 v[42:43], v[78:79], v[76:77]
	v_add_f64_e32 v[38:39], v[95:96], v[30:31]
	v_add_f64_e64 v[50:51], v[26:27], -v[28:29]
	v_add_f64_e64 v[48:49], v[40:41], -v[0:1]
	v_add_f64_e32 v[40:41], v[40:41], v[0:1]
	v_add_f64_e32 v[46:47], v[64:65], v[12:13]
	v_add_f64_e64 v[66:67], v[64:65], -v[12:13]
	v_add_f64_e64 v[68:69], v[95:96], -v[30:31]
	v_add_f64_e32 v[54:55], v[97:98], v[8:9]
	v_add_f64_e64 v[56:57], v[24:25], -v[14:15]
	v_add_f64_e64 v[58:59], v[76:77], -v[10:11]
	;; [unrolled: 1-line block ×3, first 2 shown]
	v_add_f64_e32 v[62:63], v[76:77], v[10:11]
	v_add_f64_e32 v[44:45], v[22:23], v[16:17]
	v_add_f64_e64 v[52:53], v[20:21], -v[18:19]
	v_add_f64_e64 v[72:73], v[22:23], -v[16:17]
	v_add_f64_e32 v[74:75], v[20:21], v[18:19]
	v_add_f64_e32 v[70:71], v[26:27], v[28:29]
	;; [unrolled: 1-line block ×4, first 2 shown]
	v_mul_f64_e32 v[76:77], s[18:19], v[34:35]
	v_add_f64_e32 v[24:25], v[42:43], v[24:25]
	v_mul_f64_e32 v[78:79], s[24:25], v[36:37]
	v_mul_f64_e32 v[91:92], s[14:15], v[34:35]
	;; [unrolled: 1-line block ×19, first 2 shown]
	s_wait_alu 0xfffe
	v_mul_f64_e32 v[135:136], s[30:31], v[60:61]
	v_mul_f64_e32 v[139:140], s[26:27], v[60:61]
	;; [unrolled: 1-line block ×15, first 2 shown]
	v_add_f64_e32 v[22:23], v[32:33], v[22:23]
	v_mul_f64_e32 v[32:33], s[10:11], v[60:61]
	v_fma_f64 v[159:160], v[48:49], s[22:23], v[76:77]
	v_add_f64_e32 v[20:21], v[24:25], v[20:21]
	v_fma_f64 v[24:25], v[40:41], s[18:19], v[78:79]
	v_fma_f64 v[76:77], v[48:49], s[24:25], v[76:77]
	;; [unrolled: 1-line block ×5, first 2 shown]
	v_fma_f64 v[93:94], v[40:41], s[14:15], -v[93:94]
	v_fma_f64 v[165:166], v[48:49], s[10:11], v[97:98]
	v_fma_f64 v[169:170], v[48:49], s[36:37], v[101:102]
	;; [unrolled: 1-line block ×4, first 2 shown]
	v_fma_f64 v[103:104], v[40:41], s[4:5], -v[103:104]
	v_mul_f64_e32 v[60:61], s[12:13], v[60:61]
	v_fma_f64 v[78:79], v[40:41], s[18:19], -v[78:79]
	v_fma_f64 v[167:168], v[40:41], s[0:1], v[99:100]
	v_fma_f64 v[97:98], v[48:49], s[34:35], v[97:98]
	v_fma_f64 v[99:100], v[40:41], s[0:1], -v[99:100]
	v_fma_f64 v[173:174], v[48:49], s[30:31], v[34:35]
	v_fma_f64 v[34:35], v[48:49], s[28:29], v[34:35]
	;; [unrolled: 1-line block ×3, first 2 shown]
	v_fma_f64 v[36:37], v[40:41], s[16:17], -v[36:37]
	v_fma_f64 v[40:41], v[56:57], s[20:21], v[119:120]
	v_fma_f64 v[175:176], v[56:57], s[12:13], v[123:124]
	v_fma_f64 v[123:124], v[56:57], s[36:37], v[123:124]
	v_fma_f64 v[177:178], v[56:57], s[24:25], v[125:126]
	v_fma_f64 v[125:126], v[56:57], s[22:23], v[125:126]
	v_fma_f64 v[179:180], v[56:57], s[10:11], v[46:47]
	v_fma_f64 v[46:47], v[56:57], s[34:35], v[46:47]
	v_fma_f64 v[181:182], v[58:59], s[34:35], v[129:130]
	v_fma_f64 v[129:130], v[58:59], s[10:11], v[129:130]
	v_fma_f64 v[183:184], v[58:59], s[24:25], v[131:132]
	v_fma_f64 v[131:132], v[58:59], s[22:23], v[131:132]
	v_fma_f64 v[185:186], v[58:59], s[20:21], v[133:134]
	v_fma_f64 v[191:192], v[62:63], s[14:15], v[139:140]
	v_fma_f64 v[139:140], v[62:63], s[14:15], -v[139:140]
	v_add_f64_e32 v[22:23], v[22:23], v[95:96]
	v_fma_f64 v[95:96], v[56:57], s[26:27], v[119:120]
	v_fma_f64 v[119:120], v[56:57], s[30:31], v[121:122]
	v_add_f64_e32 v[20:21], v[20:21], v[26:27]
	v_fma_f64 v[121:122], v[56:57], s[28:29], v[121:122]
	v_fma_f64 v[56:57], v[58:59], s[28:29], v[127:128]
	;; [unrolled: 1-line block ×8, first 2 shown]
	v_fma_f64 v[32:33], v[62:63], s[0:1], -v[32:33]
	v_add_f64_e32 v[159:160], v[6:7], v[159:160]
	v_add_f64_e32 v[24:25], v[4:5], v[24:25]
	;; [unrolled: 1-line block ×9, first 2 shown]
	v_fma_f64 v[135:136], v[62:63], s[16:17], -v[135:136]
	v_fma_f64 v[189:190], v[62:63], s[18:19], v[137:138]
	v_fma_f64 v[137:138], v[62:63], s[18:19], -v[137:138]
	v_fma_f64 v[193:194], v[62:63], s[4:5], v[60:61]
	v_fma_f64 v[60:61], v[62:63], s[4:5], -v[60:61]
	v_add_f64_e32 v[62:63], v[4:5], v[78:79]
	v_add_f64_e32 v[161:162], v[6:7], v[161:162]
	;; [unrolled: 1-line block ×12, first 2 shown]
	v_mul_f64_e32 v[153:154], s[28:29], v[72:73]
	v_mul_f64_e32 v[155:156], s[10:11], v[72:73]
	v_add_f64_e32 v[20:21], v[20:21], v[28:29]
	v_fma_f64 v[78:79], v[64:65], s[14:15], v[141:142]
	v_fma_f64 v[30:31], v[64:65], s[16:17], v[143:144]
	;; [unrolled: 1-line block ×3, first 2 shown]
	v_fma_f64 v[36:37], v[64:65], s[4:5], -v[145:146]
	v_fma_f64 v[145:146], v[64:65], s[18:19], -v[147:148]
	v_mul_f64_e32 v[72:73], s[26:27], v[72:73]
	v_fma_f64 v[141:142], v[64:65], s[14:15], -v[141:142]
	v_fma_f64 v[143:144], v[64:65], s[16:17], -v[143:144]
	v_fma_f64 v[48:49], v[64:65], s[18:19], v[147:148]
	v_add_f64_e32 v[56:57], v[56:57], v[159:160]
	v_add_f64_e32 v[24:25], v[58:59], v[24:25]
	;; [unrolled: 1-line block ×9, first 2 shown]
	v_fma_f64 v[147:148], v[64:65], s[0:1], v[66:67]
	v_fma_f64 v[64:65], v[64:65], s[0:1], -v[66:67]
	v_mul_f64_e32 v[105:106], s[0:1], v[38:39]
	v_mul_f64_e32 v[42:43], s[4:5], v[38:39]
	;; [unrolled: 1-line block ×3, first 2 shown]
	v_add_f64_e32 v[62:63], v[135:136], v[62:63]
	v_add_f64_e32 v[161:162], v[181:182], v[161:162]
	;; [unrolled: 1-line block ×12, first 2 shown]
	v_mul_f64_e32 v[109:110], s[16:17], v[38:39]
	v_mul_f64_e32 v[38:39], s[18:19], v[38:39]
	v_add_f64_e32 v[18:19], v[20:21], v[18:19]
	v_mul_f64_e32 v[157:158], s[34:35], v[68:69]
	v_mul_f64_e32 v[66:67], s[36:37], v[68:69]
	;; [unrolled: 1-line block ×5, first 2 shown]
	v_fma_f64 v[181:182], v[52:53], s[12:13], v[111:112]
	v_fma_f64 v[111:112], v[52:53], s[36:37], v[111:112]
	v_fma_f64 v[187:188], v[52:53], s[22:23], v[113:114]
	v_fma_f64 v[113:114], v[52:53], s[24:25], v[113:114]
	v_fma_f64 v[20:21], v[52:53], s[30:31], v[115:116]
	v_fma_f64 v[22:23], v[52:53], s[28:29], v[115:116]
	v_fma_f64 v[54:55], v[52:53], s[34:35], v[117:118]
	v_fma_f64 v[60:61], v[52:53], s[10:11], v[117:118]
	v_fma_f64 v[115:116], v[52:53], s[20:21], v[44:45]
	v_fma_f64 v[44:45], v[52:53], s[26:27], v[44:45]
	v_fma_f64 v[52:53], v[74:75], s[4:5], v[149:150]
	v_fma_f64 v[117:118], v[74:75], s[4:5], -v[149:150]
	v_fma_f64 v[137:138], v[74:75], s[18:19], v[151:152]
	v_fma_f64 v[139:140], v[74:75], s[18:19], -v[151:152]
	v_fma_f64 v[149:150], v[74:75], s[16:17], v[153:154]
	;; [unrolled: 2-line block ×3, first 2 shown]
	v_fma_f64 v[155:156], v[74:75], s[0:1], -v[155:156]
	v_add_f64_e32 v[40:41], v[40:41], v[56:57]
	v_add_f64_e32 v[24:25], v[78:79], v[24:25]
	;; [unrolled: 1-line block ×8, first 2 shown]
	v_fma_f64 v[165:166], v[74:75], s[14:15], v[72:73]
	v_fma_f64 v[72:73], v[74:75], s[14:15], -v[72:73]
	v_add_f64_e32 v[62:63], v[141:142], v[62:63]
	v_add_f64_e32 v[74:75], v[119:120], v[161:162]
	;; [unrolled: 1-line block ×14, first 2 shown]
	v_fma_f64 v[127:128], v[50:51], s[10:11], v[105:106]
	v_fma_f64 v[105:106], v[50:51], s[34:35], v[105:106]
	;; [unrolled: 1-line block ×11, first 2 shown]
	v_fma_f64 v[18:19], v[70:71], s[0:1], -v[157:158]
	v_fma_f64 v[38:39], v[70:71], s[4:5], v[66:67]
	v_fma_f64 v[66:67], v[70:71], s[4:5], -v[66:67]
	v_fma_f64 v[107:108], v[70:71], s[14:15], v[159:160]
	;; [unrolled: 2-line block ×4, first 2 shown]
	v_fma_f64 v[68:69], v[70:71], s[18:19], -v[68:69]
	v_add_f64_e32 v[30:31], v[137:138], v[30:31]
	v_add_f64_e32 v[70:71], v[113:114], v[76:77]
	;; [unrolled: 1-line block ×44, first 2 shown]
	v_lshrrev_b32_e32 v44, 4, v84
	s_delay_alu instid0(VALU_DEP_1) | instskip(NEXT) | instid1(VALU_DEP_1)
	v_mul_u32_u24_e32 v44, 0xb0, v44
	v_or_b32_e32 v44, v44, v87
	s_delay_alu instid0(VALU_DEP_1)
	v_lshl_add_u32 v44, v44, 4, 0
	ds_store_b128 v44, v[28:31] offset:512
	ds_store_b128 v44, v[24:27] offset:768
	;; [unrolled: 1-line block ×9, first 2 shown]
	ds_store_b128 v44, v[0:3]
	ds_store_b128 v44, v[36:39] offset:2560
.LBB0_35:
	s_or_b32 exec_lo, exec_lo, s33
	v_dual_mov_b32 v87, 0 :: v_dual_and_b32 v0, 0xffff, v89
	global_wb scope:SCOPE_SE
	s_wait_dscnt 0x0
	s_barrier_signal -1
	s_barrier_wait -1
	v_mul_u32_u24_e32 v0, 0xba2f, v0
	global_inv scope:SCOPE_SE
	s_mov_b32 s4, 0xe8584caa
	s_mov_b32 s5, 0x3febb67a
	;; [unrolled: 1-line block ×3, first 2 shown]
	v_lshrrev_b32_e32 v0, 23, v0
	s_wait_alu 0xfffe
	s_mov_b32 s10, s4
	s_delay_alu instid0(VALU_DEP_1) | instskip(SKIP_2) | instid1(VALU_DEP_3)
	v_mul_lo_u16 v2, 0xb0, v0
	v_lshlrev_b64_e32 v[0:1], 4, v[86:87]
	v_mov_b32_e32 v86, v87
	v_sub_nc_u16 v2, v89, v2
	v_mov_b32_e32 v89, v87
	s_delay_alu instid0(VALU_DEP_4)
	v_add_co_u32 v44, s0, s8, v0
	s_wait_alu 0xf1ff
	v_add_co_ci_u32_e64 v45, s0, s9, v1, s0
	v_and_b32_e32 v72, 0xffff, v2
	s_clause 0x1
	global_load_b128 v[0:3], v[44:45], off offset:2752
	global_load_b128 v[4:7], v[44:45], off offset:2768
	v_lshlrev_b32_e32 v12, 5, v72
	s_clause 0x1
	global_load_b128 v[8:11], v12, s[8:9] offset:2752
	global_load_b128 v[12:15], v12, s[8:9] offset:2768
	ds_load_b128 v[16:19], v90 offset:8448
	ds_load_b128 v[20:23], v90 offset:16896
	;; [unrolled: 1-line block ×7, first 2 shown]
	s_wait_loadcnt_dscnt 0x306
	v_mul_f64_e32 v[46:47], v[18:19], v[2:3]
	s_wait_loadcnt_dscnt 0x205
	v_mul_f64_e32 v[48:49], v[22:23], v[6:7]
	v_mul_f64_e32 v[50:51], v[16:17], v[2:3]
	;; [unrolled: 1-line block ×3, first 2 shown]
	s_wait_dscnt 0x4
	v_mul_f64_e32 v[54:55], v[26:27], v[2:3]
	s_wait_dscnt 0x3
	v_mul_f64_e32 v[56:57], v[30:31], v[6:7]
	v_mul_f64_e32 v[2:3], v[24:25], v[2:3]
	;; [unrolled: 1-line block ×3, first 2 shown]
	s_wait_loadcnt_dscnt 0x102
	v_mul_f64_e32 v[58:59], v[34:35], v[10:11]
	s_wait_loadcnt_dscnt 0x1
	v_mul_f64_e32 v[60:61], v[38:39], v[14:15]
	v_mul_f64_e32 v[10:11], v[32:33], v[10:11]
	;; [unrolled: 1-line block ×3, first 2 shown]
	v_fma_f64 v[16:17], v[16:17], v[0:1], -v[46:47]
	v_fma_f64 v[20:21], v[20:21], v[4:5], -v[48:49]
	v_fma_f64 v[18:19], v[18:19], v[0:1], v[50:51]
	v_fma_f64 v[22:23], v[22:23], v[4:5], v[52:53]
	v_fma_f64 v[24:25], v[24:25], v[0:1], -v[54:55]
	v_fma_f64 v[28:29], v[28:29], v[4:5], -v[56:57]
	v_fma_f64 v[26:27], v[26:27], v[0:1], v[2:3]
	v_fma_f64 v[30:31], v[30:31], v[4:5], v[6:7]
	;; [unrolled: 4-line block ×3, first 2 shown]
	ds_load_b128 v[0:3], v90
	ds_load_b128 v[4:7], v90 offset:2816
	global_wb scope:SCOPE_SE
	s_wait_dscnt 0x0
	s_barrier_signal -1
	s_barrier_wait -1
	global_inv scope:SCOPE_SE
	v_add_f64_e32 v[50:51], v[0:1], v[16:17]
	v_add_f64_e32 v[12:13], v[16:17], v[20:21]
	v_add_f64_e64 v[64:65], v[16:17], -v[20:21]
	v_add_f64_e32 v[14:15], v[18:19], v[22:23]
	v_add_f64_e64 v[52:53], v[18:19], -v[22:23]
	v_add_f64_e32 v[34:35], v[24:25], v[28:29]
	v_add_f64_e32 v[18:19], v[2:3], v[18:19]
	;; [unrolled: 1-line block ×7, first 2 shown]
	v_add_f64_e64 v[26:27], v[26:27], -v[30:31]
	v_add_f64_e64 v[68:69], v[24:25], -v[28:29]
	v_add_f64_e32 v[58:59], v[40:41], v[32:33]
	v_add_f64_e32 v[60:61], v[42:43], v[8:9]
	v_add_f64_e64 v[70:71], v[8:9], -v[10:11]
	v_fma_f64 v[62:63], v[12:13], -0.5, v[0:1]
	v_add_f64_e32 v[0:1], v[50:51], v[20:21]
	v_fma_f64 v[66:67], v[14:15], -0.5, v[2:3]
	v_fma_f64 v[34:35], v[34:35], -0.5, v[4:5]
	v_add_f64_e32 v[2:3], v[18:19], v[22:23]
	v_fma_f64 v[38:39], v[38:39], -0.5, v[6:7]
	v_add_f64_e32 v[4:5], v[54:55], v[28:29]
	v_fma_f64 v[40:41], v[46:47], -0.5, v[40:41]
	v_add_f64_e64 v[46:47], v[32:33], -v[36:37]
	v_fma_f64 v[42:43], v[48:49], -0.5, v[42:43]
	v_add_f64_e32 v[6:7], v[56:57], v[30:31]
	v_add_f64_e32 v[8:9], v[58:59], v[36:37]
	;; [unrolled: 1-line block ×3, first 2 shown]
	v_lshlrev_b64_e32 v[36:37], 4, v[85:86]
	s_delay_alu instid0(VALU_DEP_1) | instskip(SKIP_1) | instid1(VALU_DEP_2)
	v_add_co_u32 v36, s0, s8, v36
	s_wait_alu 0xf1ff
	v_add_co_ci_u32_e64 v37, s0, s9, v37, s0
	v_fma_f64 v[12:13], v[52:53], s[4:5], v[62:63]
	s_wait_alu 0xfffe
	v_fma_f64 v[16:17], v[52:53], s[10:11], v[62:63]
	v_fma_f64 v[14:15], v[64:65], s[10:11], v[66:67]
	;; [unrolled: 1-line block ×11, first 2 shown]
	v_lshlrev_b64_e32 v[38:39], 4, v[88:89]
	v_lshl_add_u32 v40, v72, 4, 0
	ds_store_b128 v90, v[0:3]
	ds_store_b128 v90, v[12:15] offset:2816
	ds_store_b128 v90, v[16:19] offset:5632
	;; [unrolled: 1-line block ×8, first 2 shown]
	v_add_co_u32 v20, s0, s8, v38
	global_wb scope:SCOPE_SE
	s_wait_dscnt 0x0
	s_barrier_signal -1
	s_barrier_wait -1
	global_inv scope:SCOPE_SE
	s_clause 0x1
	global_load_b128 v[0:3], v[44:45], off offset:8400
	global_load_b128 v[4:7], v[44:45], off offset:8384
	s_wait_alu 0xf1ff
	v_add_co_ci_u32_e64 v21, s0, s9, v39, s0
	s_clause 0x3
	global_load_b128 v[8:11], v[36:37], off offset:8384
	global_load_b128 v[12:15], v[36:37], off offset:8400
	;; [unrolled: 1-line block ×4, first 2 shown]
	ds_load_b128 v[24:27], v90 offset:8448
	ds_load_b128 v[28:31], v90 offset:16896
	;; [unrolled: 1-line block ×7, first 2 shown]
	s_wait_loadcnt_dscnt 0x505
	v_mul_f64_e32 v[54:55], v[30:31], v[2:3]
	s_wait_loadcnt 0x4
	v_mul_f64_e32 v[52:53], v[26:27], v[6:7]
	v_mul_f64_e32 v[6:7], v[24:25], v[6:7]
	;; [unrolled: 1-line block ×3, first 2 shown]
	s_wait_loadcnt_dscnt 0x304
	v_mul_f64_e32 v[56:57], v[34:35], v[10:11]
	s_wait_loadcnt_dscnt 0x203
	v_mul_f64_e32 v[58:59], v[38:39], v[14:15]
	v_mul_f64_e32 v[10:11], v[32:33], v[10:11]
	;; [unrolled: 1-line block ×3, first 2 shown]
	s_wait_loadcnt_dscnt 0x102
	v_mul_f64_e32 v[60:61], v[42:43], v[18:19]
	s_wait_loadcnt_dscnt 0x1
	v_mul_f64_e32 v[62:63], v[46:47], v[22:23]
	v_mul_f64_e32 v[18:19], v[40:41], v[18:19]
	;; [unrolled: 1-line block ×3, first 2 shown]
	v_fma_f64 v[28:29], v[28:29], v[0:1], -v[54:55]
	v_fma_f64 v[24:25], v[24:25], v[4:5], -v[52:53]
	v_fma_f64 v[26:27], v[26:27], v[4:5], v[6:7]
	v_fma_f64 v[30:31], v[30:31], v[0:1], v[2:3]
	v_fma_f64 v[32:33], v[32:33], v[8:9], -v[56:57]
	v_fma_f64 v[36:37], v[36:37], v[12:13], -v[58:59]
	v_fma_f64 v[8:9], v[34:35], v[8:9], v[10:11]
	v_fma_f64 v[10:11], v[38:39], v[12:13], v[14:15]
	;; [unrolled: 4-line block ×3, first 2 shown]
	ds_load_b128 v[0:3], v90
	ds_load_b128 v[4:7], v90 offset:2816
	global_wb scope:SCOPE_SE
	s_wait_dscnt 0x0
	s_barrier_signal -1
	s_barrier_wait -1
	global_inv scope:SCOPE_SE
	v_add_f64_e32 v[20:21], v[24:25], v[28:29]
	v_add_f64_e32 v[44:45], v[0:1], v[24:25]
	;; [unrolled: 1-line block ×3, first 2 shown]
	v_add_f64_e64 v[46:47], v[26:27], -v[30:31]
	v_add_f64_e32 v[34:35], v[32:33], v[36:37]
	v_add_f64_e32 v[26:27], v[2:3], v[26:27]
	;; [unrolled: 1-line block ×8, first 2 shown]
	v_add_f64_e64 v[24:25], v[24:25], -v[28:29]
	v_add_f64_e32 v[56:57], v[48:49], v[12:13]
	v_add_f64_e64 v[60:61], v[8:9], -v[10:11]
	v_add_f64_e64 v[32:33], v[32:33], -v[36:37]
	;; [unrolled: 1-line block ×3, first 2 shown]
	v_fma_f64 v[20:21], v[20:21], -0.5, v[0:1]
	v_add_f64_e32 v[0:1], v[44:45], v[28:29]
	v_fma_f64 v[22:23], v[22:23], -0.5, v[2:3]
	v_fma_f64 v[34:35], v[34:35], -0.5, v[4:5]
	v_add_f64_e32 v[2:3], v[26:27], v[30:31]
	v_fma_f64 v[38:39], v[38:39], -0.5, v[6:7]
	v_add_f64_e32 v[4:5], v[52:53], v[36:37]
	v_fma_f64 v[40:41], v[40:41], -0.5, v[48:49]
	v_add_f64_e64 v[48:49], v[12:13], -v[14:15]
	v_fma_f64 v[42:43], v[42:43], -0.5, v[50:51]
	v_add_f64_e32 v[6:7], v[54:55], v[10:11]
	v_add_f64_e32 v[10:11], v[58:59], v[18:19]
	;; [unrolled: 1-line block ×3, first 2 shown]
	v_fma_f64 v[16:17], v[46:47], s[10:11], v[20:21]
	v_fma_f64 v[12:13], v[46:47], s[4:5], v[20:21]
	;; [unrolled: 1-line block ×12, first 2 shown]
	ds_store_b128 v90, v[0:3]
	ds_store_b128 v90, v[4:7] offset:2816
	ds_store_b128 v90, v[16:19] offset:16896
	;; [unrolled: 1-line block ×8, first 2 shown]
	global_wb scope:SCOPE_SE
	s_wait_dscnt 0x0
	s_barrier_signal -1
	s_barrier_wait -1
	global_inv scope:SCOPE_SE
	s_and_saveexec_b32 s0, vcc_lo
	s_cbranch_execz .LBB0_37
; %bb.36:
	v_mul_lo_u32 v2, s3, v82
	v_mul_lo_u32 v3, s2, v83
	v_mad_co_u64_u32 v[0:1], null, s2, v82, 0
	v_dual_mov_b32 v85, v87 :: v_dual_add_nc_u32 v86, 0xb0, v84
	v_lshlrev_b64_e32 v[8:9], 4, v[80:81]
	v_lshl_add_u32 v26, v84, 4, 0
	s_delay_alu instid0(VALU_DEP_3) | instskip(SKIP_3) | instid1(VALU_DEP_3)
	v_lshlrev_b64_e32 v[10:11], 4, v[84:85]
	v_add3_u32 v1, v1, v3, v2
	v_lshlrev_b64_e32 v[16:17], 4, v[86:87]
	v_add_nc_u32_e32 v86, 0x160, v84
	v_lshlrev_b64_e32 v[12:13], 4, v[0:1]
	ds_load_b128 v[0:3], v26
	ds_load_b128 v[4:7], v26 offset:2816
	v_lshlrev_b64_e32 v[18:19], 4, v[86:87]
	v_add_nc_u32_e32 v86, 0x210, v84
	v_add_co_u32 v12, vcc_lo, s6, v12
	s_wait_alu 0xfffd
	v_add_co_ci_u32_e32 v13, vcc_lo, s7, v13, vcc_lo
	s_delay_alu instid0(VALU_DEP_3) | instskip(NEXT) | instid1(VALU_DEP_3)
	v_lshlrev_b64_e32 v[22:23], 4, v[86:87]
	v_add_co_u32 v30, vcc_lo, v12, v8
	s_wait_alu 0xfffd
	s_delay_alu instid0(VALU_DEP_3) | instskip(SKIP_1) | instid1(VALU_DEP_3)
	v_add_co_ci_u32_e32 v31, vcc_lo, v13, v9, vcc_lo
	v_add_nc_u32_e32 v86, 0x2c0, v84
	v_add_co_u32 v20, vcc_lo, v30, v10
	s_wait_alu 0xfffd
	s_delay_alu instid0(VALU_DEP_3)
	v_add_co_ci_u32_e32 v21, vcc_lo, v31, v11, vcc_lo
	ds_load_b128 v[8:11], v26 offset:5632
	ds_load_b128 v[12:15], v26 offset:8448
	v_add_co_u32 v16, vcc_lo, v30, v16
	s_wait_alu 0xfffd
	v_add_co_ci_u32_e32 v17, vcc_lo, v31, v17, vcc_lo
	v_add_co_u32 v18, vcc_lo, v30, v18
	s_wait_alu 0xfffd
	v_add_co_ci_u32_e32 v19, vcc_lo, v31, v19, vcc_lo
	v_lshlrev_b64_e32 v[24:25], 4, v[86:87]
	v_add_nc_u32_e32 v86, 0x370, v84
	v_add_co_u32 v22, vcc_lo, v30, v22
	s_wait_alu 0xfffd
	v_add_co_ci_u32_e32 v23, vcc_lo, v31, v23, vcc_lo
	s_wait_dscnt 0x3
	global_store_b128 v[20:21], v[0:3], off
	s_wait_dscnt 0x2
	global_store_b128 v[16:17], v[4:7], off
	;; [unrolled: 2-line block ×4, first 2 shown]
	v_lshlrev_b64_e32 v[8:9], 4, v[86:87]
	v_add_co_u32 v20, vcc_lo, v30, v24
	v_add_nc_u32_e32 v86, 0x420, v84
	s_wait_alu 0xfffd
	v_add_co_ci_u32_e32 v21, vcc_lo, v31, v25, vcc_lo
	s_delay_alu instid0(VALU_DEP_4)
	v_add_co_u32 v24, vcc_lo, v30, v8
	ds_load_b128 v[0:3], v26 offset:11264
	ds_load_b128 v[4:7], v26 offset:14080
	s_wait_alu 0xfffd
	v_add_co_ci_u32_e32 v25, vcc_lo, v31, v9, vcc_lo
	ds_load_b128 v[8:11], v26 offset:16896
	ds_load_b128 v[12:15], v26 offset:19712
	;; [unrolled: 1-line block ×3, first 2 shown]
	v_lshlrev_b64_e32 v[22:23], 4, v[86:87]
	v_add_nc_u32_e32 v86, 0x4d0, v84
	s_delay_alu instid0(VALU_DEP_1) | instskip(SKIP_1) | instid1(VALU_DEP_4)
	v_lshlrev_b64_e32 v[26:27], 4, v[86:87]
	v_add_nc_u32_e32 v86, 0x580, v84
	v_add_co_u32 v22, vcc_lo, v30, v22
	s_wait_alu 0xfffd
	v_add_co_ci_u32_e32 v23, vcc_lo, v31, v23, vcc_lo
	s_delay_alu instid0(VALU_DEP_3) | instskip(SKIP_3) | instid1(VALU_DEP_3)
	v_lshlrev_b64_e32 v[28:29], 4, v[86:87]
	v_add_co_u32 v26, vcc_lo, v30, v26
	s_wait_alu 0xfffd
	v_add_co_ci_u32_e32 v27, vcc_lo, v31, v27, vcc_lo
	v_add_co_u32 v28, vcc_lo, v30, v28
	s_wait_alu 0xfffd
	v_add_co_ci_u32_e32 v29, vcc_lo, v31, v29, vcc_lo
	s_wait_dscnt 0x4
	global_store_b128 v[20:21], v[0:3], off
	s_wait_dscnt 0x3
	global_store_b128 v[24:25], v[4:7], off
	;; [unrolled: 2-line block ×5, first 2 shown]
.LBB0_37:
	s_nop 0
	s_sendmsg sendmsg(MSG_DEALLOC_VGPRS)
	s_endpgm
	.section	.rodata,"a",@progbits
	.p2align	6, 0x0
	.amdhsa_kernel fft_rtc_fwd_len1584_factors_4_2_2_11_3_3_wgs_176_tpt_176_halfLds_dp_op_CI_CI_unitstride_sbrr_C2R_dirReg
		.amdhsa_group_segment_fixed_size 0
		.amdhsa_private_segment_fixed_size 0
		.amdhsa_kernarg_size 104
		.amdhsa_user_sgpr_count 2
		.amdhsa_user_sgpr_dispatch_ptr 0
		.amdhsa_user_sgpr_queue_ptr 0
		.amdhsa_user_sgpr_kernarg_segment_ptr 1
		.amdhsa_user_sgpr_dispatch_id 0
		.amdhsa_user_sgpr_private_segment_size 0
		.amdhsa_wavefront_size32 1
		.amdhsa_uses_dynamic_stack 0
		.amdhsa_enable_private_segment 0
		.amdhsa_system_sgpr_workgroup_id_x 1
		.amdhsa_system_sgpr_workgroup_id_y 0
		.amdhsa_system_sgpr_workgroup_id_z 0
		.amdhsa_system_sgpr_workgroup_info 0
		.amdhsa_system_vgpr_workitem_id 0
		.amdhsa_next_free_vgpr 195
		.amdhsa_next_free_sgpr 39
		.amdhsa_reserve_vcc 1
		.amdhsa_float_round_mode_32 0
		.amdhsa_float_round_mode_16_64 0
		.amdhsa_float_denorm_mode_32 3
		.amdhsa_float_denorm_mode_16_64 3
		.amdhsa_fp16_overflow 0
		.amdhsa_workgroup_processor_mode 1
		.amdhsa_memory_ordered 1
		.amdhsa_forward_progress 0
		.amdhsa_round_robin_scheduling 0
		.amdhsa_exception_fp_ieee_invalid_op 0
		.amdhsa_exception_fp_denorm_src 0
		.amdhsa_exception_fp_ieee_div_zero 0
		.amdhsa_exception_fp_ieee_overflow 0
		.amdhsa_exception_fp_ieee_underflow 0
		.amdhsa_exception_fp_ieee_inexact 0
		.amdhsa_exception_int_div_zero 0
	.end_amdhsa_kernel
	.text
.Lfunc_end0:
	.size	fft_rtc_fwd_len1584_factors_4_2_2_11_3_3_wgs_176_tpt_176_halfLds_dp_op_CI_CI_unitstride_sbrr_C2R_dirReg, .Lfunc_end0-fft_rtc_fwd_len1584_factors_4_2_2_11_3_3_wgs_176_tpt_176_halfLds_dp_op_CI_CI_unitstride_sbrr_C2R_dirReg
                                        ; -- End function
	.section	.AMDGPU.csdata,"",@progbits
; Kernel info:
; codeLenInByte = 9760
; NumSgprs: 41
; NumVgprs: 195
; ScratchSize: 0
; MemoryBound: 0
; FloatMode: 240
; IeeeMode: 1
; LDSByteSize: 0 bytes/workgroup (compile time only)
; SGPRBlocks: 5
; VGPRBlocks: 24
; NumSGPRsForWavesPerEU: 41
; NumVGPRsForWavesPerEU: 195
; Occupancy: 7
; WaveLimiterHint : 1
; COMPUTE_PGM_RSRC2:SCRATCH_EN: 0
; COMPUTE_PGM_RSRC2:USER_SGPR: 2
; COMPUTE_PGM_RSRC2:TRAP_HANDLER: 0
; COMPUTE_PGM_RSRC2:TGID_X_EN: 1
; COMPUTE_PGM_RSRC2:TGID_Y_EN: 0
; COMPUTE_PGM_RSRC2:TGID_Z_EN: 0
; COMPUTE_PGM_RSRC2:TIDIG_COMP_CNT: 0
	.text
	.p2alignl 7, 3214868480
	.fill 96, 4, 3214868480
	.type	__hip_cuid_a447ad419a6481e7,@object ; @__hip_cuid_a447ad419a6481e7
	.section	.bss,"aw",@nobits
	.globl	__hip_cuid_a447ad419a6481e7
__hip_cuid_a447ad419a6481e7:
	.byte	0                               ; 0x0
	.size	__hip_cuid_a447ad419a6481e7, 1

	.ident	"AMD clang version 19.0.0git (https://github.com/RadeonOpenCompute/llvm-project roc-6.4.0 25133 c7fe45cf4b819c5991fe208aaa96edf142730f1d)"
	.section	".note.GNU-stack","",@progbits
	.addrsig
	.addrsig_sym __hip_cuid_a447ad419a6481e7
	.amdgpu_metadata
---
amdhsa.kernels:
  - .args:
      - .actual_access:  read_only
        .address_space:  global
        .offset:         0
        .size:           8
        .value_kind:     global_buffer
      - .offset:         8
        .size:           8
        .value_kind:     by_value
      - .actual_access:  read_only
        .address_space:  global
        .offset:         16
        .size:           8
        .value_kind:     global_buffer
      - .actual_access:  read_only
        .address_space:  global
        .offset:         24
        .size:           8
        .value_kind:     global_buffer
      - .actual_access:  read_only
        .address_space:  global
        .offset:         32
        .size:           8
        .value_kind:     global_buffer
      - .offset:         40
        .size:           8
        .value_kind:     by_value
      - .actual_access:  read_only
        .address_space:  global
        .offset:         48
        .size:           8
        .value_kind:     global_buffer
      - .actual_access:  read_only
        .address_space:  global
        .offset:         56
        .size:           8
        .value_kind:     global_buffer
      - .offset:         64
        .size:           4
        .value_kind:     by_value
      - .actual_access:  read_only
        .address_space:  global
        .offset:         72
        .size:           8
        .value_kind:     global_buffer
      - .actual_access:  read_only
        .address_space:  global
        .offset:         80
        .size:           8
        .value_kind:     global_buffer
      - .actual_access:  read_only
        .address_space:  global
        .offset:         88
        .size:           8
        .value_kind:     global_buffer
      - .actual_access:  write_only
        .address_space:  global
        .offset:         96
        .size:           8
        .value_kind:     global_buffer
    .group_segment_fixed_size: 0
    .kernarg_segment_align: 8
    .kernarg_segment_size: 104
    .language:       OpenCL C
    .language_version:
      - 2
      - 0
    .max_flat_workgroup_size: 176
    .name:           fft_rtc_fwd_len1584_factors_4_2_2_11_3_3_wgs_176_tpt_176_halfLds_dp_op_CI_CI_unitstride_sbrr_C2R_dirReg
    .private_segment_fixed_size: 0
    .sgpr_count:     41
    .sgpr_spill_count: 0
    .symbol:         fft_rtc_fwd_len1584_factors_4_2_2_11_3_3_wgs_176_tpt_176_halfLds_dp_op_CI_CI_unitstride_sbrr_C2R_dirReg.kd
    .uniform_work_group_size: 1
    .uses_dynamic_stack: false
    .vgpr_count:     195
    .vgpr_spill_count: 0
    .wavefront_size: 32
    .workgroup_processor_mode: 1
amdhsa.target:   amdgcn-amd-amdhsa--gfx1201
amdhsa.version:
  - 1
  - 2
...

	.end_amdgpu_metadata
